;; amdgpu-corpus repo=zjin-lcf/HeCBench kind=compiled arch=gfx906 opt=O3
	.amdgcn_target "amdgcn-amd-amdhsa--gfx906"
	.amdhsa_code_object_version 6
	.text
	.protected	_Z7bsplinePKflllPfS1_S1_S0_S0_S0_S0_S0_S0_S0_S0_S0_fffiiiii ; -- Begin function _Z7bsplinePKflllPfS1_S1_S0_S0_S0_S0_S0_S0_S0_S0_S0_fffiiiii
	.globl	_Z7bsplinePKflllPfS1_S1_S0_S0_S0_S0_S0_S0_S0_S0_S0_fffiiiii
	.p2align	8
	.type	_Z7bsplinePKflllPfS1_S1_S0_S0_S0_S0_S0_S0_S0_S0_S0_fffiiiii,@function
_Z7bsplinePKflllPfS1_S1_S0_S0_S0_S0_S0_S0_S0_S0_S0_fffiiiii: ; @_Z7bsplinePKflllPfS1_S1_S0_S0_S0_S0_S0_S0_S0_S0_S0_fffiiiii
; %bb.0:
	s_load_dword s0, s[4:5], 0xac
	s_load_dwordx8 s[8:15], s[4:5], 0x80
	s_waitcnt lgkmcnt(0)
	s_and_b32 s0, s0, 0xffff
	s_mul_i32 s6, s6, s0
	v_add_u32_e32 v0, s6, v0
	v_cmp_gt_i32_e32 vcc, s11, v0
	s_and_saveexec_b64 s[0:1], vcc
	s_cbranch_execz .LBB0_4
; %bb.1:
	s_load_dwordx8 s[16:23], s[4:5], 0x8
	s_load_dwordx2 s[6:7], s[4:5], 0x0
	s_ashr_i32 s0, s13, 31
	s_mov_b32 s26, s15
	v_ashrrev_i32_e32 v1, 31, v0
	s_waitcnt lgkmcnt(0)
	s_mul_hi_u32 s1, s16, s13
	s_mul_i32 s0, s16, s0
	s_mul_i32 s2, s17, s13
	s_add_i32 s0, s1, s0
	s_add_i32 s1, s0, s2
	s_mul_i32 s0, s16, s13
	s_lshl_b64 s[0:1], s[0:1], 2
	s_add_u32 s11, s6, s0
	s_addc_u32 s13, s7, s1
	s_ashr_i32 s3, s14, 31
	s_mul_hi_u32 s24, s18, s14
	s_mul_i32 s25, s18, s3
	s_add_i32 s24, s24, s25
	s_mul_i32 s25, s19, s14
	s_add_i32 s25, s24, s25
	s_mul_i32 s24, s18, s14
	s_lshl_b64 s[24:25], s[24:25], 2
	s_add_u32 s11, s11, s24
	s_addc_u32 s13, s13, s25
	s_ashr_i32 s27, s15, 31
	s_mov_b32 s2, s14
	s_mul_hi_u32 s14, s20, s15
	s_mul_i32 s28, s20, s27
	s_add_i32 s14, s14, s28
	s_mul_i32 s28, s21, s15
	s_add_i32 s29, s14, s28
	s_mul_i32 s28, s20, s15
	s_lshl_b64 s[28:29], s[28:29], 2
	s_add_u32 s11, s11, s28
	s_addc_u32 s13, s13, s29
	s_lshl_b64 s[14:15], s[16:17], 2
	s_add_u32 s24, s24, s0
	s_addc_u32 s25, s25, s1
	;; [unrolled: 3-line block ×3, first 2 shown]
	s_mul_i32 s27, s20, s27
	s_mul_hi_u32 s30, s20, s26
	s_add_i32 s27, s30, s27
	s_mul_i32 s30, s21, s26
	s_add_i32 s27, s27, s30
	s_mul_i32 s26, s20, s26
	s_add_u32 s30, s24, s26
	s_addc_u32 s31, s25, s27
	s_add_u32 s33, s6, s30
	s_addc_u32 s34, s7, s31
	s_add_u32 s30, s16, 12
	s_addc_u32 s31, s17, 0
	s_mul_i32 s31, s20, s31
	s_mul_hi_u32 s35, s20, s30
	s_add_i32 s31, s35, s31
	s_mul_i32 s35, s21, s30
	s_add_i32 s31, s31, s35
	s_mul_i32 s30, s20, s30
	s_add_u32 s35, s24, s30
	s_addc_u32 s36, s25, s31
	s_add_u32 s35, s6, s35
	s_addc_u32 s56, s7, s36
	s_add_u32 s16, s16, 4
	s_addc_u32 s17, s17, 0
	;; [unrolled: 12-line block ×3, first 2 shown]
	s_lshl_b64 s[2:3], s[2:3], 2
	s_add_u32 s24, s2, 8
	s_addc_u32 s25, s3, 0
	s_mul_i32 s25, s18, s25
	s_mul_hi_u32 s36, s18, s24
	s_add_i32 s25, s36, s25
	s_mul_i32 s36, s19, s24
	s_add_i32 s25, s25, s36
	s_mul_i32 s24, s18, s24
	s_add_u32 s36, s20, s24
	s_addc_u32 s37, s21, s25
	s_add_u32 s59, s6, s36
	s_addc_u32 s60, s7, s37
	s_add_u32 s30, s0, s30
	s_addc_u32 s31, s1, s31
	s_add_u32 s36, s30, s24
	s_addc_u32 s37, s31, s25
	s_add_u32 s61, s6, s36
	s_addc_u32 s62, s7, s37
	s_add_u32 s36, s0, s16
	s_addc_u32 s37, s1, s17
	s_add_u32 s38, s36, s24
	s_addc_u32 s39, s37, s25
	s_add_u32 s63, s6, s38
	s_addc_u32 s64, s7, s39
	s_add_u32 s28, s28, s0
	s_addc_u32 s29, s29, s1
	s_add_u32 s24, s28, s24
	s_addc_u32 s25, s29, s25
	s_add_u32 s65, s6, s24
	s_addc_u32 s66, s7, s25
	s_add_u32 s24, s2, 12
	s_addc_u32 s25, s3, 0
	s_mul_i32 s25, s18, s25
	s_mul_hi_u32 s38, s18, s24
	s_add_i32 s25, s38, s25
	s_mul_i32 s38, s19, s24
	s_add_i32 s25, s25, s38
	s_mul_i32 s24, s18, s24
	s_add_u32 s0, s0, s24
	s_addc_u32 s1, s1, s25
	s_add_u32 s26, s0, s26
	s_addc_u32 s27, s1, s27
	;; [unrolled: 2-line block ×10, first 2 shown]
	s_mul_i32 s1, s18, s1
	s_mul_hi_u32 s2, s18, s0
	s_add_i32 s1, s2, s1
	s_mul_i32 s2, s19, s0
	s_add_i32 s1, s1, s2
	s_mul_i32 s0, s18, s0
	s_add_u32 s2, s28, s0
	s_addc_u32 s3, s29, s1
	s_add_u32 s75, s6, s2
	s_addc_u32 s76, s7, s3
	;; [unrolled: 2-line block ×7, first 2 shown]
	s_load_dwordx8 s[36:43], s[4:5], 0x48
	s_load_dwordx2 s[20:21], s[4:5], 0x78
	s_load_dwordx4 s[0:3], s[4:5], 0x68
	s_add_u32 s81, s6, s16
	s_addc_u32 s82, s7, s17
	v_lshlrev_b64 v[1:2], 2, v[0:1]
	s_waitcnt lgkmcnt(0)
	s_load_dwordx4 s[16:19], s[20:21], 0x0
	s_load_dwordx4 s[44:47], s[36:37], 0x0
	s_load_dwordx4 s[48:51], s[42:43], 0x0
	s_load_dwordx8 s[24:31], s[4:5], 0x28
	s_waitcnt lgkmcnt(0)
	s_load_dwordx4 s[4:7], s[30:31], 0x0
	s_load_dwordx4 s[52:55], s[40:41], 0x0
	s_nop 0
	s_load_dwordx4 s[40:43], s[2:3], 0x0
	v_mov_b32_e32 v6, 0
	v_mov_b32_e32 v11, 0
	;; [unrolled: 1-line block ×10, first 2 shown]
	s_mov_b64 s[20:21], 0
.LBB0_2:                                ; =>This Inner Loop Header: Depth=1
	v_add_co_u32_e32 v16, vcc, s11, v1
	v_mov_b32_e32 v3, s13
	v_addc_co_u32_e32 v17, vcc, v3, v2, vcc
	global_load_dword v24, v[16:17], off
	v_add_co_u32_e32 v16, vcc, s57, v1
	v_mov_b32_e32 v17, s58
	v_addc_co_u32_e32 v17, vcc, v17, v2, vcc
	global_load_dword v25, v[16:17], off
	;; [unrolled: 4-line block ×4, first 2 shown]
	s_add_u32 s2, s0, s20
	s_addc_u32 s3, s1, s21
	s_load_dword s30, s[2:3], 0x0
	s_add_u32 s2, s38, s20
	s_addc_u32 s3, s39, s21
	s_load_dword s31, s[2:3], 0x0
	;; [unrolled: 3-line block ×3, first 2 shown]
	s_waitcnt lgkmcnt(0)
	v_mov_b32_e32 v15, s30
	v_mov_b32_e32 v3, s31
	v_mul_f32_e32 v18, s4, v15
	v_mul_f32_e32 v19, s4, v3
	v_mov_b32_e32 v4, s2
	v_mul_f32_e32 v22, s52, v4
	v_mul_f32_e32 v23, s40, v4
	;; [unrolled: 1-line block ×4, first 2 shown]
	s_add_u32 s20, s20, 4
	s_addc_u32 s21, s21, 0
	s_add_u32 s11, s11, s14
	s_addc_u32 s13, s13, s15
	;; [unrolled: 2-line block ×5, first 2 shown]
	s_waitcnt vmcnt(2)
	v_mul_f32_e32 v26, s45, v25
	v_mul_f32_e32 v17, s49, v25
	v_fmac_f32_e32 v26, s44, v24
	v_fmac_f32_e32 v17, s48, v24
	v_mul_f32_e32 v25, s17, v25
	v_fmac_f32_e32 v25, s16, v24
	s_waitcnt vmcnt(1)
	v_fmac_f32_e32 v26, s46, v27
	v_fmac_f32_e32 v17, s50, v27
	v_fmac_f32_e32 v25, s18, v27
	s_waitcnt vmcnt(0)
	v_fmac_f32_e32 v26, s47, v16
	v_fmac_f32_e32 v17, s51, v16
	;; [unrolled: 1-line block ×5, first 2 shown]
	v_add_co_u32_e32 v22, vcc, s75, v1
	v_mov_b32_e32 v23, s76
	v_addc_co_u32_e32 v23, vcc, v23, v2, vcc
	global_load_dword v24, v[22:23], off
	v_add_co_u32_e32 v22, vcc, s81, v1
	v_mov_b32_e32 v23, s82
	v_fmac_f32_e32 v25, s19, v16
	v_addc_co_u32_e32 v23, vcc, v23, v2, vcc
	v_fmac_f32_e32 v5, v20, v25
	global_load_dword v25, v[22:23], off
	v_add_co_u32_e32 v22, vcc, s77, v1
	v_mov_b32_e32 v23, s78
	v_addc_co_u32_e32 v23, vcc, v23, v2, vcc
	global_load_dword v27, v[22:23], off
	v_add_co_u32_e32 v22, vcc, s79, v1
	v_mov_b32_e32 v23, s80
	v_addc_co_u32_e32 v23, vcc, v23, v2, vcc
	global_load_dword v22, v[22:23], off
	v_fmac_f32_e32 v11, v18, v26
	v_fmac_f32_e32 v10, v21, v26
	;; [unrolled: 1-line block ×6, first 2 shown]
	v_mul_f32_e32 v17, s5, v3
	v_mul_f32_e32 v16, s5, v4
	;; [unrolled: 1-line block ×6, first 2 shown]
	s_waitcnt vmcnt(2)
	v_mul_f32_e32 v23, s49, v25
	v_mul_f32_e32 v26, s45, v25
	v_fmac_f32_e32 v23, s48, v24
	v_mul_f32_e32 v25, s17, v25
	v_fmac_f32_e32 v26, s44, v24
	v_fmac_f32_e32 v25, s16, v24
	s_waitcnt vmcnt(1)
	v_fmac_f32_e32 v23, s50, v27
	v_fmac_f32_e32 v26, s46, v27
	;; [unrolled: 1-line block ×3, first 2 shown]
	s_waitcnt vmcnt(0)
	v_fmac_f32_e32 v23, s51, v22
	v_fmac_f32_e32 v26, s47, v22
	;; [unrolled: 1-line block ×6, first 2 shown]
	v_add_co_u32_e32 v22, vcc, s65, v1
	v_mov_b32_e32 v23, s66
	v_addc_co_u32_e32 v23, vcc, v23, v2, vcc
	global_load_dword v24, v[22:23], off
	v_add_co_u32_e32 v22, vcc, s63, v1
	v_mov_b32_e32 v23, s64
	v_addc_co_u32_e32 v23, vcc, v23, v2, vcc
	v_fmac_f32_e32 v5, v16, v25
	global_load_dword v25, v[22:23], off
	v_add_co_u32_e32 v22, vcc, s59, v1
	v_mov_b32_e32 v23, s60
	v_addc_co_u32_e32 v23, vcc, v23, v2, vcc
	global_load_dword v27, v[22:23], off
	v_add_co_u32_e32 v22, vcc, s61, v1
	v_mov_b32_e32 v23, s62
	v_addc_co_u32_e32 v23, vcc, v23, v2, vcc
	global_load_dword v22, v[22:23], off
	v_fmac_f32_e32 v11, v19, v26
	v_fmac_f32_e32 v10, v20, v26
	;; [unrolled: 1-line block ×6, first 2 shown]
	v_mul_f32_e32 v19, s6, v15
	v_mul_f32_e32 v17, s6, v3
	;; [unrolled: 1-line block ×6, first 2 shown]
	s_add_u32 s59, s59, s14
	s_addc_u32 s60, s60, s15
	s_add_u32 s61, s61, s14
	s_addc_u32 s62, s62, s15
	;; [unrolled: 2-line block ×4, first 2 shown]
	s_waitcnt vmcnt(2)
	v_mul_f32_e32 v26, s45, v25
	v_mul_f32_e32 v23, s49, v25
	;; [unrolled: 1-line block ×3, first 2 shown]
	v_fmac_f32_e32 v26, s44, v24
	v_fmac_f32_e32 v23, s48, v24
	;; [unrolled: 1-line block ×3, first 2 shown]
	s_waitcnt vmcnt(1)
	v_fmac_f32_e32 v26, s46, v27
	v_fmac_f32_e32 v23, s50, v27
	;; [unrolled: 1-line block ×3, first 2 shown]
	s_waitcnt vmcnt(0)
	v_fmac_f32_e32 v26, s47, v22
	v_fmac_f32_e32 v23, s51, v22
	;; [unrolled: 1-line block ×12, first 2 shown]
	v_mul_f32_e32 v18, s7, v15
	v_mul_f32_e32 v16, s7, v3
	;; [unrolled: 1-line block ×6, first 2 shown]
	v_add_co_u32_e32 v3, vcc, s73, v1
	v_mov_b32_e32 v4, s74
	v_addc_co_u32_e32 v4, vcc, v4, v2, vcc
	v_fmac_f32_e32 v8, v21, v26
	global_load_dword v21, v[3:4], off
	v_add_co_u32_e32 v3, vcc, s71, v1
	v_mov_b32_e32 v4, s72
	v_addc_co_u32_e32 v4, vcc, v4, v2, vcc
	global_load_dword v22, v[3:4], off
	v_add_co_u32_e32 v23, vcc, s67, v1
	v_mov_b32_e32 v4, s68
	v_addc_co_u32_e32 v24, vcc, v4, v2, vcc
	;; [unrolled: 4-line block ×3, first 2 shown]
	global_load_dword v23, v[23:24], off
	s_add_u32 s67, s67, s14
	s_addc_u32 s68, s68, s15
	s_add_u32 s69, s69, s14
	s_addc_u32 s70, s70, s15
	;; [unrolled: 2-line block ×8, first 2 shown]
	s_cmp_lg_u32 s20, 16
	s_waitcnt vmcnt(2)
	v_mul_f32_e32 v3, s45, v22
	v_mul_f32_e32 v24, s49, v22
	;; [unrolled: 1-line block ×3, first 2 shown]
	v_fmac_f32_e32 v3, s44, v21
	v_fmac_f32_e32 v24, s48, v21
	;; [unrolled: 1-line block ×3, first 2 shown]
	s_waitcnt vmcnt(1)
	v_fmac_f32_e32 v3, s46, v4
	v_fmac_f32_e32 v24, s50, v4
	;; [unrolled: 1-line block ×3, first 2 shown]
	s_waitcnt vmcnt(0)
	v_fmac_f32_e32 v3, s47, v23
	v_fmac_f32_e32 v24, s51, v23
	v_fmac_f32_e32 v22, s19, v23
	v_fmac_f32_e32 v11, v18, v3
	v_fmac_f32_e32 v10, v19, v3
	v_fmac_f32_e32 v9, v16, v24
	v_fmac_f32_e32 v8, v20, v3
	v_fmac_f32_e32 v7, v17, v24
	v_fmac_f32_e32 v5, v15, v22
	v_fmac_f32_e32 v12, v16, v3
	v_fmac_f32_e32 v13, v17, v3
	v_fmac_f32_e32 v14, v15, v24
	v_fmac_f32_e32 v6, v15, v3
	s_cbranch_scc1 .LBB0_2
; %bb.3:
	s_mul_i32 s0, s12, 0x7d3
	s_ashr_i32 s1, s0, 31
	s_lshl_b64 s[0:1], s[0:1], 2
	s_add_u32 s4, s22, s0
	s_mul_i32 s0, s12, 0x177c
	s_addc_u32 s5, s23, s1
	s_ashr_i32 s1, s0, 31
	v_lshl_add_u32 v3, v0, 1, v0
	s_mul_i32 s2, s12, 0x4674
	v_ashrrev_i32_e32 v4, 31, v3
	s_ashr_i32 s3, s2, 31
	v_lshl_add_u32 v15, v0, 3, v0
	v_mov_b32_e32 v17, s5
	v_add_co_u32_e32 v0, vcc, s4, v1
	s_lshl_b64 s[0:1], s[0:1], 2
	v_addc_co_u32_e32 v1, vcc, v17, v2, vcc
	s_add_u32 s0, s24, s0
	v_lshlrev_b64 v[2:3], 2, v[3:4]
	s_addc_u32 s1, s25, s1
	v_ashrrev_i32_e32 v16, 31, v15
	v_mov_b32_e32 v4, s1
	v_add_co_u32_e32 v17, vcc, s0, v2
	v_addc_co_u32_e32 v18, vcc, v4, v3, vcc
	s_lshl_b64 s[0:1], s[2:3], 2
	v_lshlrev_b64 v[2:3], 2, v[15:16]
	s_add_u32 s0, s26, s0
	v_add_co_u32_e32 v15, vcc, s0, v2
	global_store_dword v[0:1], v6, off
	v_mul_f32_e32 v0, s8, v12
	v_mul_f32_e32 v1, s9, v13
	;; [unrolled: 1-line block ×3, first 2 shown]
	s_addc_u32 s1, s27, s1
	global_store_dwordx3 v[17:18], v[0:2], off
	v_mov_b32_e32 v4, s1
	v_mul_f32_e32 v1, s8, v10
	v_mul_f32_e32 v0, s8, v11
	;; [unrolled: 1-line block ×4, first 2 shown]
	v_addc_co_u32_e32 v16, vcc, v4, v3, vcc
	v_mul_f32_e32 v0, s8, v0
	v_mul_f32_e32 v2, s10, v2
	v_mov_b32_e32 v3, v1
	global_store_dwordx4 v[15:16], v[0:3], off
	s_nop 0
	v_mul_f32_e32 v1, s9, v7
	v_mul_f32_e32 v0, s9, v8
	;; [unrolled: 1-line block ×4, first 2 shown]
	v_mov_b32_e32 v3, v1
	global_store_dwordx4 v[15:16], v[0:3], off offset:16
	s_nop 0
	v_mul_f32_e32 v0, s10, v5
	v_mul_f32_e32 v0, s10, v0
	global_store_dword v[15:16], v0, off offset:32
.LBB0_4:
	s_endpgm
	.section	.rodata,"a",@progbits
	.p2align	6, 0x0
	.amdhsa_kernel _Z7bsplinePKflllPfS1_S1_S0_S0_S0_S0_S0_S0_S0_S0_S0_fffiiiii
		.amdhsa_group_segment_fixed_size 0
		.amdhsa_private_segment_fixed_size 0
		.amdhsa_kernarg_size 416
		.amdhsa_user_sgpr_count 6
		.amdhsa_user_sgpr_private_segment_buffer 1
		.amdhsa_user_sgpr_dispatch_ptr 0
		.amdhsa_user_sgpr_queue_ptr 0
		.amdhsa_user_sgpr_kernarg_segment_ptr 1
		.amdhsa_user_sgpr_dispatch_id 0
		.amdhsa_user_sgpr_flat_scratch_init 0
		.amdhsa_user_sgpr_private_segment_size 0
		.amdhsa_uses_dynamic_stack 0
		.amdhsa_system_sgpr_private_segment_wavefront_offset 0
		.amdhsa_system_sgpr_workgroup_id_x 1
		.amdhsa_system_sgpr_workgroup_id_y 0
		.amdhsa_system_sgpr_workgroup_id_z 0
		.amdhsa_system_sgpr_workgroup_info 0
		.amdhsa_system_vgpr_workitem_id 0
		.amdhsa_next_free_vgpr 28
		.amdhsa_next_free_sgpr 83
		.amdhsa_reserve_vcc 1
		.amdhsa_reserve_flat_scratch 0
		.amdhsa_float_round_mode_32 0
		.amdhsa_float_round_mode_16_64 0
		.amdhsa_float_denorm_mode_32 3
		.amdhsa_float_denorm_mode_16_64 3
		.amdhsa_dx10_clamp 1
		.amdhsa_ieee_mode 1
		.amdhsa_fp16_overflow 0
		.amdhsa_exception_fp_ieee_invalid_op 0
		.amdhsa_exception_fp_denorm_src 0
		.amdhsa_exception_fp_ieee_div_zero 0
		.amdhsa_exception_fp_ieee_overflow 0
		.amdhsa_exception_fp_ieee_underflow 0
		.amdhsa_exception_fp_ieee_inexact 0
		.amdhsa_exception_int_div_zero 0
	.end_amdhsa_kernel
	.text
.Lfunc_end0:
	.size	_Z7bsplinePKflllPfS1_S1_S0_S0_S0_S0_S0_S0_S0_S0_S0_fffiiiii, .Lfunc_end0-_Z7bsplinePKflllPfS1_S1_S0_S0_S0_S0_S0_S0_S0_S0_S0_fffiiiii
                                        ; -- End function
	.set _Z7bsplinePKflllPfS1_S1_S0_S0_S0_S0_S0_S0_S0_S0_S0_fffiiiii.num_vgpr, 28
	.set _Z7bsplinePKflllPfS1_S1_S0_S0_S0_S0_S0_S0_S0_S0_S0_fffiiiii.num_agpr, 0
	.set _Z7bsplinePKflllPfS1_S1_S0_S0_S0_S0_S0_S0_S0_S0_S0_fffiiiii.numbered_sgpr, 83
	.set _Z7bsplinePKflllPfS1_S1_S0_S0_S0_S0_S0_S0_S0_S0_S0_fffiiiii.num_named_barrier, 0
	.set _Z7bsplinePKflllPfS1_S1_S0_S0_S0_S0_S0_S0_S0_S0_S0_fffiiiii.private_seg_size, 0
	.set _Z7bsplinePKflllPfS1_S1_S0_S0_S0_S0_S0_S0_S0_S0_S0_fffiiiii.uses_vcc, 1
	.set _Z7bsplinePKflllPfS1_S1_S0_S0_S0_S0_S0_S0_S0_S0_S0_fffiiiii.uses_flat_scratch, 0
	.set _Z7bsplinePKflllPfS1_S1_S0_S0_S0_S0_S0_S0_S0_S0_S0_fffiiiii.has_dyn_sized_stack, 0
	.set _Z7bsplinePKflllPfS1_S1_S0_S0_S0_S0_S0_S0_S0_S0_S0_fffiiiii.has_recursion, 0
	.set _Z7bsplinePKflllPfS1_S1_S0_S0_S0_S0_S0_S0_S0_S0_S0_fffiiiii.has_indirect_call, 0
	.section	.AMDGPU.csdata,"",@progbits
; Kernel info:
; codeLenInByte = 2128
; TotalNumSgprs: 87
; NumVgprs: 28
; ScratchSize: 0
; MemoryBound: 0
; FloatMode: 240
; IeeeMode: 1
; LDSByteSize: 0 bytes/workgroup (compile time only)
; SGPRBlocks: 10
; VGPRBlocks: 6
; NumSGPRsForWavesPerEU: 87
; NumVGPRsForWavesPerEU: 28
; Occupancy: 9
; WaveLimiterHint : 0
; COMPUTE_PGM_RSRC2:SCRATCH_EN: 0
; COMPUTE_PGM_RSRC2:USER_SGPR: 6
; COMPUTE_PGM_RSRC2:TRAP_HANDLER: 0
; COMPUTE_PGM_RSRC2:TGID_X_EN: 1
; COMPUTE_PGM_RSRC2:TGID_Y_EN: 0
; COMPUTE_PGM_RSRC2:TGID_Z_EN: 0
; COMPUTE_PGM_RSRC2:TIDIG_COMP_CNT: 0
	.section	.AMDGPU.gpr_maximums,"",@progbits
	.set amdgpu.max_num_vgpr, 0
	.set amdgpu.max_num_agpr, 0
	.set amdgpu.max_num_sgpr, 0
	.section	.AMDGPU.csdata,"",@progbits
	.type	__hip_cuid_732e41bfbf2ee1bf,@object ; @__hip_cuid_732e41bfbf2ee1bf
	.section	.bss,"aw",@nobits
	.globl	__hip_cuid_732e41bfbf2ee1bf
__hip_cuid_732e41bfbf2ee1bf:
	.byte	0                               ; 0x0
	.size	__hip_cuid_732e41bfbf2ee1bf, 1

	.ident	"AMD clang version 22.0.0git (https://github.com/RadeonOpenCompute/llvm-project roc-7.2.4 26084 f58b06dce1f9c15707c5f808fd002e18c2accf7e)"
	.section	".note.GNU-stack","",@progbits
	.addrsig
	.addrsig_sym __hip_cuid_732e41bfbf2ee1bf
	.amdgpu_metadata
---
amdhsa.kernels:
  - .args:
      - .actual_access:  read_only
        .address_space:  global
        .offset:         0
        .size:           8
        .value_kind:     global_buffer
      - .offset:         8
        .size:           8
        .value_kind:     by_value
      - .offset:         16
        .size:           8
        .value_kind:     by_value
      - .offset:         24
        .size:           8
        .value_kind:     by_value
      - .actual_access:  write_only
        .address_space:  global
        .offset:         32
        .size:           8
        .value_kind:     global_buffer
      - .actual_access:  write_only
        .address_space:  global
        .offset:         40
        .size:           8
        .value_kind:     global_buffer
      - .actual_access:  write_only
        .address_space:  global
        .offset:         48
        .size:           8
        .value_kind:     global_buffer
      - .actual_access:  read_only
        .address_space:  global
        .offset:         56
        .size:           8
        .value_kind:     global_buffer
      - .actual_access:  read_only
        .address_space:  global
        .offset:         64
        .size:           8
        .value_kind:     global_buffer
      - .actual_access:  read_only
        .address_space:  global
        .offset:         72
        .size:           8
        .value_kind:     global_buffer
      - .actual_access:  read_only
        .address_space:  global
        .offset:         80
        .size:           8
        .value_kind:     global_buffer
      - .actual_access:  read_only
        .address_space:  global
        .offset:         88
        .size:           8
        .value_kind:     global_buffer
      - .actual_access:  read_only
        .address_space:  global
        .offset:         96
        .size:           8
        .value_kind:     global_buffer
      - .actual_access:  read_only
        .address_space:  global
        .offset:         104
        .size:           8
        .value_kind:     global_buffer
      - .actual_access:  read_only
        .address_space:  global
        .offset:         112
        .size:           8
        .value_kind:     global_buffer
      - .actual_access:  read_only
        .address_space:  global
        .offset:         120
        .size:           8
        .value_kind:     global_buffer
      - .offset:         128
        .size:           4
        .value_kind:     by_value
      - .offset:         132
        .size:           4
        .value_kind:     by_value
      - .offset:         136
        .size:           4
        .value_kind:     by_value
      - .offset:         140
        .size:           4
        .value_kind:     by_value
      - .offset:         144
        .size:           4
        .value_kind:     by_value
      - .offset:         148
        .size:           4
        .value_kind:     by_value
      - .offset:         152
        .size:           4
        .value_kind:     by_value
      - .offset:         156
        .size:           4
        .value_kind:     by_value
      - .offset:         160
        .size:           4
        .value_kind:     hidden_block_count_x
      - .offset:         164
        .size:           4
        .value_kind:     hidden_block_count_y
      - .offset:         168
        .size:           4
        .value_kind:     hidden_block_count_z
      - .offset:         172
        .size:           2
        .value_kind:     hidden_group_size_x
      - .offset:         174
        .size:           2
        .value_kind:     hidden_group_size_y
      - .offset:         176
        .size:           2
        .value_kind:     hidden_group_size_z
      - .offset:         178
        .size:           2
        .value_kind:     hidden_remainder_x
      - .offset:         180
        .size:           2
        .value_kind:     hidden_remainder_y
      - .offset:         182
        .size:           2
        .value_kind:     hidden_remainder_z
      - .offset:         200
        .size:           8
        .value_kind:     hidden_global_offset_x
      - .offset:         208
        .size:           8
        .value_kind:     hidden_global_offset_y
      - .offset:         216
        .size:           8
        .value_kind:     hidden_global_offset_z
      - .offset:         224
        .size:           2
        .value_kind:     hidden_grid_dims
    .group_segment_fixed_size: 0
    .kernarg_segment_align: 8
    .kernarg_segment_size: 416
    .language:       OpenCL C
    .language_version:
      - 2
      - 0
    .max_flat_workgroup_size: 1024
    .name:           _Z7bsplinePKflllPfS1_S1_S0_S0_S0_S0_S0_S0_S0_S0_S0_fffiiiii
    .private_segment_fixed_size: 0
    .sgpr_count:     87
    .sgpr_spill_count: 0
    .symbol:         _Z7bsplinePKflllPfS1_S1_S0_S0_S0_S0_S0_S0_S0_S0_S0_fffiiiii.kd
    .uniform_work_group_size: 1
    .uses_dynamic_stack: false
    .vgpr_count:     28
    .vgpr_spill_count: 0
    .wavefront_size: 64
amdhsa.target:   amdgcn-amd-amdhsa--gfx906
amdhsa.version:
  - 1
  - 2
...

	.end_amdgpu_metadata
